;; amdgpu-corpus repo=ROCm/rocFFT kind=compiled arch=gfx906 opt=O3
	.text
	.amdgcn_target "amdgcn-amd-amdhsa--gfx906"
	.amdhsa_code_object_version 6
	.protected	bluestein_single_back_len144_dim1_dp_op_CI_CI ; -- Begin function bluestein_single_back_len144_dim1_dp_op_CI_CI
	.globl	bluestein_single_back_len144_dim1_dp_op_CI_CI
	.p2align	8
	.type	bluestein_single_back_len144_dim1_dp_op_CI_CI,@function
bluestein_single_back_len144_dim1_dp_op_CI_CI: ; @bluestein_single_back_len144_dim1_dp_op_CI_CI
; %bb.0:
	v_mul_u32_u24_e32 v1, 0x1556, v0
	s_load_dwordx4 s[16:19], s[4:5], 0x28
	v_lshrrev_b32_e32 v1, 16, v1
	v_mad_u64_u32 v[124:125], s[0:1], s6, 10, v[1:2]
	v_mov_b32_e32 v125, 0
	s_waitcnt lgkmcnt(0)
	v_cmp_gt_u64_e32 vcc, s[16:17], v[124:125]
	s_and_saveexec_b64 s[0:1], vcc
	s_cbranch_execz .LBB0_2
; %bb.1:
	s_load_dwordx4 s[0:3], s[4:5], 0x18
	s_load_dwordx4 s[8:11], s[4:5], 0x0
	v_mul_lo_u16_e32 v1, 12, v1
	v_sub_u16_e32 v128, v0, v1
	v_mov_b32_e32 v7, s19
	s_waitcnt lgkmcnt(0)
	s_load_dwordx4 s[12:15], s[0:1], 0x0
	v_or_b32_e32 v129, 48, v128
	v_mov_b32_e32 v127, 0x300
	v_or_b32_e32 v130, 0x60, v128
	v_lshlrev_b32_e32 v125, 4, v128
	s_waitcnt lgkmcnt(0)
	v_mad_u64_u32 v[0:1], s[0:1], s14, v124, 0
	v_mad_u64_u32 v[2:3], s[0:1], s12, v128, 0
	s_add_u32 s14, s8, 0x900
	s_mul_i32 s6, s13, 0x180
	v_mad_u64_u32 v[4:5], s[0:1], s15, v124, v[1:2]
	s_mul_hi_u32 s7, s12, 0x180
	s_addc_u32 s15, s9, 0
	v_mad_u64_u32 v[5:6], s[0:1], s13, v128, v[3:4]
	v_mov_b32_e32 v1, v4
	v_lshlrev_b64 v[0:1], 4, v[0:1]
	v_mov_b32_e32 v3, v5
	v_add_co_u32_e32 v22, vcc, s18, v0
	v_addc_co_u32_e32 v23, vcc, v7, v1, vcc
	v_mad_u64_u32 v[6:7], s[0:1], s12, v129, 0
	v_lshlrev_b64 v[0:1], 4, v[2:3]
	s_add_i32 s0, s7, s6
	v_add_co_u32_e32 v4, vcc, v22, v0
	v_addc_co_u32_e32 v5, vcc, v23, v1, vcc
	s_mul_i32 s1, s12, 0x180
	v_mad_u64_u32 v[7:8], s[6:7], s13, v129, v[7:8]
	v_mov_b32_e32 v9, s0
	v_add_co_u32_e32 v12, vcc, s1, v4
	v_addc_co_u32_e32 v13, vcc, v5, v9, vcc
	v_mad_u64_u32 v[16:17], s[6:7], s12, v130, 0
	v_mad_u64_u32 v[18:19], s[6:7], s12, v127, v[12:13]
	global_load_dwordx4 v[48:51], v[4:5], off
	v_lshlrev_b64 v[4:5], 4, v[6:7]
	global_load_dwordx4 v[0:3], v125, s[8:9]
	global_load_dwordx4 v[8:11], v125, s[8:9] offset:384
	v_add_co_u32_e32 v14, vcc, v22, v4
	s_mul_i32 s16, s13, 0x300
	v_addc_co_u32_e32 v15, vcc, v23, v5, vcc
	global_load_dwordx4 v[52:55], v[12:13], off
	global_load_dwordx4 v[56:59], v[14:15], off
	global_load_dwordx4 v[4:7], v125, s[8:9] offset:768
	v_mov_b32_e32 v12, v17
	v_add_u32_e32 v19, s16, v19
	v_mad_u64_u32 v[20:21], s[6:7], s13, v130, v[12:13]
	global_load_dwordx4 v[60:63], v[18:19], off
	global_load_dwordx4 v[12:15], v125, s[8:9] offset:1152
	v_mad_u64_u32 v[28:29], s[6:7], s12, v127, v[18:19]
	v_mov_b32_e32 v17, v20
	v_lshlrev_b64 v[16:17], 4, v[16:17]
	v_add_u32_e32 v29, s16, v29
	v_mov_b32_e32 v131, 0xfffff940
	v_mad_u64_u32 v[30:31], s[6:7], s12, v131, v[28:29]
	v_add_co_u32_e32 v20, vcc, v22, v16
	v_addc_co_u32_e32 v21, vcc, v23, v17, vcc
	s_mul_i32 s6, s13, 0xfffff940
	global_load_dwordx4 v[64:67], v[20:21], off
	global_load_dwordx4 v[16:19], v125, s[8:9] offset:1536
	s_sub_i32 s6, s6, s12
	global_load_dwordx4 v[20:23], v125, s[8:9] offset:1920
	v_add_u32_e32 v31, s6, v31
	global_load_dwordx4 v[68:71], v[28:29], off
	global_load_dwordx4 v[72:75], v[30:31], off
	global_load_dwordx4 v[24:27], v125, s[8:9] offset:192
	v_mov_b32_e32 v28, s0
	v_add_co_u32_e32 v32, vcc, s1, v30
	v_addc_co_u32_e32 v33, vcc, v31, v28, vcc
	global_load_dwordx4 v[76:79], v[32:33], off
	global_load_dwordx4 v[28:31], v125, s[8:9] offset:576
	v_mov_b32_e32 v34, s0
	v_add_co_u32_e32 v36, vcc, s1, v32
	v_addc_co_u32_e32 v37, vcc, v33, v34, vcc
	v_mov_b32_e32 v38, s0
	v_add_co_u32_e32 v40, vcc, s1, v36
	v_addc_co_u32_e32 v41, vcc, v37, v38, vcc
	v_mov_b32_e32 v42, s0
	v_add_co_u32_e32 v44, vcc, s1, v40
	global_load_dwordx4 v[80:83], v[36:37], off
	global_load_dwordx4 v[32:35], v125, s[8:9] offset:960
	v_addc_co_u32_e32 v45, vcc, v41, v42, vcc
	global_load_dwordx4 v[84:87], v[40:41], off
	global_load_dwordx4 v[36:39], v125, s[8:9] offset:1344
	v_mov_b32_e32 v46, s0
	v_add_co_u32_e32 v97, vcc, s1, v44
	global_load_dwordx4 v[89:92], v[44:45], off
	global_load_dwordx4 v[40:43], v125, s[8:9] offset:1728
	v_addc_co_u32_e32 v98, vcc, v45, v46, vcc
	global_load_dwordx4 v[93:96], v[97:98], off
	global_load_dwordx4 v[44:47], v125, s[8:9] offset:2112
	s_mov_b32 s0, 0xcccccccd
	v_mul_hi_u32 v88, v124, s0
	s_load_dwordx4 s[0:3], s[2:3], 0x0
	s_mov_b32 s6, 0xe8584caa
	s_mov_b32 s7, 0x3febb67a
	v_lshrrev_b32_e32 v88, 3, v88
	v_mul_lo_u32 v88, v88, 10
	s_mov_b32 s13, 0xbfebb67a
	s_mov_b32 s12, s6
	v_add_co_u32_e32 v121, vcc, 12, v128
	v_sub_u32_e32 v88, v124, v88
	v_mul_u32_u24_e32 v88, 0x90, v88
	v_lshl_add_u32 v132, v88, 4, v125
	v_cmp_gt_u16_e32 vcc, 6, v128
	s_movk_i32 s17, 0xab
	s_movk_i32 s16, 0x50
	s_load_dwordx2 s[4:5], s[4:5], 0x38
	s_waitcnt vmcnt(22)
	v_mul_f64 v[97:98], v[50:51], v[2:3]
	v_mul_f64 v[99:100], v[48:49], v[2:3]
	s_waitcnt vmcnt(20)
	v_mul_f64 v[101:102], v[54:55], v[10:11]
	v_mul_f64 v[103:104], v[52:53], v[10:11]
	;; [unrolled: 3-line block ×3, first 2 shown]
	v_fma_f64 v[48:49], v[48:49], v[0:1], v[97:98]
	v_fma_f64 v[50:51], v[50:51], v[0:1], -v[99:100]
	v_or_b32_e32 v97, v88, v128
	s_waitcnt vmcnt(16)
	v_mul_f64 v[109:110], v[62:63], v[14:15]
	v_mul_f64 v[111:112], v[60:61], v[14:15]
	v_fma_f64 v[52:53], v[52:53], v[8:9], v[101:102]
	v_fma_f64 v[54:55], v[54:55], v[8:9], -v[103:104]
	v_fma_f64 v[56:57], v[56:57], v[4:5], v[105:106]
	v_fma_f64 v[58:59], v[58:59], v[4:5], -v[107:108]
	v_lshlrev_b32_e32 v133, 4, v97
	ds_write_b128 v133, v[48:51]
	v_fma_f64 v[60:61], v[60:61], v[12:13], v[109:110]
	v_fma_f64 v[62:63], v[62:63], v[12:13], -v[111:112]
	ds_write_b128 v132, v[52:55] offset:384
	ds_write_b128 v132, v[56:59] offset:768
	;; [unrolled: 1-line block ×3, first 2 shown]
	s_waitcnt vmcnt(14)
	v_mul_f64 v[48:49], v[66:67], v[18:19]
	v_mul_f64 v[50:51], v[64:65], v[18:19]
	s_waitcnt vmcnt(12)
	v_mul_f64 v[52:53], v[70:71], v[22:23]
	v_mul_f64 v[54:55], v[68:69], v[22:23]
	;; [unrolled: 3-line block ×4, first 2 shown]
	v_fma_f64 v[48:49], v[64:65], v[16:17], v[48:49]
	v_fma_f64 v[50:51], v[66:67], v[16:17], -v[50:51]
	v_fma_f64 v[52:53], v[68:69], v[20:21], v[52:53]
	v_fma_f64 v[54:55], v[70:71], v[20:21], -v[54:55]
	;; [unrolled: 2-line block ×4, first 2 shown]
	s_waitcnt vmcnt(6)
	v_mul_f64 v[64:65], v[82:83], v[34:35]
	v_mul_f64 v[66:67], v[80:81], v[34:35]
	s_waitcnt vmcnt(4)
	v_mul_f64 v[68:69], v[86:87], v[38:39]
	v_mul_f64 v[70:71], v[84:85], v[38:39]
	;; [unrolled: 3-line block ×3, first 2 shown]
	v_fma_f64 v[64:65], v[80:81], v[32:33], v[64:65]
	s_waitcnt vmcnt(0)
	v_mul_f64 v[76:77], v[95:96], v[46:47]
	v_mul_f64 v[78:79], v[93:94], v[46:47]
	v_fma_f64 v[66:67], v[82:83], v[32:33], -v[66:67]
	v_fma_f64 v[68:69], v[84:85], v[36:37], v[68:69]
	v_fma_f64 v[70:71], v[86:87], v[36:37], -v[70:71]
	v_fma_f64 v[72:73], v[89:90], v[40:41], v[72:73]
	;; [unrolled: 2-line block ×3, first 2 shown]
	v_fma_f64 v[78:79], v[95:96], v[44:45], -v[78:79]
	ds_write_b128 v132, v[48:51] offset:1536
	ds_write_b128 v132, v[52:55] offset:1920
	;; [unrolled: 1-line block ×8, first 2 shown]
	s_waitcnt lgkmcnt(0)
	s_barrier
	ds_read_b128 v[48:51], v132 offset:768
	ds_read_b128 v[52:55], v132 offset:1536
	;; [unrolled: 1-line block ×3, first 2 shown]
	ds_read_b128 v[60:63], v133
	ds_read_b128 v[64:67], v132 offset:192
	ds_read_b128 v[68:71], v132 offset:960
	;; [unrolled: 1-line block ×4, first 2 shown]
	s_waitcnt lgkmcnt(6)
	v_add_f64 v[99:100], v[48:49], v[52:53]
	ds_read_b128 v[80:83], v132 offset:1344
	ds_read_b128 v[84:87], v132 offset:2112
	;; [unrolled: 1-line block ×4, first 2 shown]
	s_waitcnt lgkmcnt(8)
	v_add_f64 v[97:98], v[60:61], v[48:49]
	s_waitcnt lgkmcnt(4)
	v_add_f64 v[101:102], v[76:77], v[56:57]
	v_add_f64 v[103:104], v[78:79], v[58:59]
	v_add_f64 v[105:106], v[76:77], -v[56:57]
	v_add_f64 v[107:108], v[78:79], -v[58:59]
	v_fma_f64 v[60:61], v[99:100], -0.5, v[60:61]
	v_add_f64 v[99:100], v[50:51], -v[54:55]
	v_add_f64 v[109:110], v[50:51], v[54:55]
	v_add_f64 v[50:51], v[62:63], v[50:51]
	s_waitcnt lgkmcnt(1)
	v_fma_f64 v[101:102], v[101:102], -0.5, v[89:90]
	v_fma_f64 v[103:104], v[103:104], -0.5, v[91:92]
	v_add_f64 v[97:98], v[97:98], v[52:53]
	v_add_f64 v[48:49], v[48:49], -v[52:53]
	v_add_f64 v[115:116], v[68:69], v[72:73]
	v_fma_f64 v[111:112], v[99:100], s[6:7], v[60:61]
	v_fma_f64 v[99:100], v[99:100], s[12:13], v[60:61]
	v_fma_f64 v[62:63], v[109:110], -0.5, v[62:63]
	v_fma_f64 v[113:114], v[107:108], s[12:13], v[101:102]
	v_fma_f64 v[60:61], v[105:106], s[12:13], v[103:104]
	;; [unrolled: 1-line block ×4, first 2 shown]
	v_add_f64 v[105:106], v[50:51], v[54:55]
	v_add_f64 v[50:51], v[89:90], v[76:77]
	;; [unrolled: 1-line block ×3, first 2 shown]
	v_fma_f64 v[91:92], v[48:49], s[12:13], v[62:63]
	v_mul_f64 v[54:55], v[113:114], -0.5
	v_mul_f64 v[52:53], v[60:61], s[6:7]
	v_mul_f64 v[78:79], v[101:102], s[12:13]
	v_mul_f64 v[89:90], v[103:104], -0.5
	v_fma_f64 v[107:108], v[48:49], s[6:7], v[62:63]
	v_add_f64 v[62:63], v[50:51], v[56:57]
	v_add_f64 v[117:118], v[80:81], v[84:85]
	;; [unrolled: 1-line block ×3, first 2 shown]
	v_fma_f64 v[103:104], v[103:104], s[6:7], v[54:55]
	v_fma_f64 v[101:102], v[101:102], 0.5, v[52:53]
	v_add_f64 v[109:110], v[76:77], v[58:59]
	v_fma_f64 v[78:79], v[60:61], 0.5, v[78:79]
	v_fma_f64 v[113:114], v[113:114], s[12:13], v[89:90]
	v_add_f64 v[48:49], v[97:98], v[62:63]
	v_add_f64 v[60:61], v[97:98], -v[62:63]
	v_add_f64 v[97:98], v[64:65], v[68:69]
	v_add_f64 v[56:57], v[99:100], v[103:104]
	;; [unrolled: 1-line block ×3, first 2 shown]
	v_add_f64 v[76:77], v[111:112], -v[101:102]
	v_add_f64 v[89:90], v[99:100], -v[103:104]
	v_fma_f64 v[64:65], v[115:116], -0.5, v[64:65]
	v_add_f64 v[99:100], v[70:71], -v[74:75]
	s_waitcnt lgkmcnt(0)
	v_fma_f64 v[101:102], v[117:118], -0.5, v[93:94]
	v_fma_f64 v[103:104], v[119:120], -0.5, v[95:96]
	v_add_f64 v[111:112], v[80:81], -v[84:85]
	v_add_f64 v[115:116], v[82:83], -v[86:87]
	v_add_f64 v[117:118], v[70:71], v[74:75]
	v_add_f64 v[70:71], v[66:67], v[70:71]
	;; [unrolled: 1-line block ×3, first 2 shown]
	v_add_f64 v[62:63], v[105:106], -v[109:110]
	v_fma_f64 v[105:106], v[99:100], s[6:7], v[64:65]
	v_fma_f64 v[99:100], v[99:100], s[12:13], v[64:65]
	;; [unrolled: 1-line block ×6, first 2 shown]
	v_add_f64 v[111:112], v[70:71], v[74:75]
	v_add_f64 v[70:71], v[93:94], v[80:81]
	;; [unrolled: 1-line block ×4, first 2 shown]
	v_fma_f64 v[66:67], v[117:118], -0.5, v[66:67]
	v_add_f64 v[68:69], v[68:69], -v[72:73]
	v_mul_f64 v[72:73], v[64:65], s[6:7]
	v_mul_f64 v[82:83], v[101:102], s[12:13]
	v_mul_f64 v[74:75], v[109:110], -0.5
	v_mul_f64 v[93:94], v[103:104], -0.5
	v_add_f64 v[84:85], v[70:71], v[84:85]
	v_add_f64 v[86:87], v[80:81], v[86:87]
	;; [unrolled: 1-line block ×3, first 2 shown]
	v_fma_f64 v[95:96], v[68:69], s[12:13], v[66:67]
	v_fma_f64 v[101:102], v[101:102], 0.5, v[72:73]
	v_fma_f64 v[117:118], v[64:65], 0.5, v[82:83]
	v_fma_f64 v[115:116], v[68:69], s[6:7], v[66:67]
	v_fma_f64 v[103:104], v[103:104], s[6:7], v[74:75]
	;; [unrolled: 1-line block ×3, first 2 shown]
	v_add_f64 v[58:59], v[107:108], v[113:114]
	v_add_f64 v[78:79], v[91:92], -v[78:79]
	v_add_f64 v[91:92], v[107:108], -v[113:114]
	v_add_f64 v[64:65], v[97:98], v[84:85]
	v_add_f64 v[66:67], v[111:112], v[86:87]
	v_add_f64 v[80:81], v[97:98], -v[84:85]
	v_mul_lo_u16_e32 v97, 6, v128
	v_add_f64 v[68:69], v[105:106], v[101:102]
	v_add_f64 v[70:71], v[95:96], v[117:118]
	v_add_lshl_u32 v134, v88, v97, 4
	v_add_f64 v[72:73], v[99:100], v[103:104]
	v_add_f64 v[74:75], v[115:116], v[109:110]
	s_barrier
	ds_write_b128 v134, v[48:51]
	ds_write_b128 v134, v[52:55] offset:16
	ds_write_b128 v134, v[56:59] offset:32
	;; [unrolled: 1-line block ×5, first 2 shown]
	v_mul_u32_u24_e32 v48, 6, v121
	v_add_f64 v[82:83], v[111:112], -v[86:87]
	v_add_lshl_u32 v135, v88, v48, 4
	v_add_u32_e32 v48, -6, v128
	v_add_f64 v[84:85], v[105:106], -v[101:102]
	v_add_f64 v[86:87], v[95:96], -v[117:118]
	v_cndmask_b32_e32 v123, v48, v128, vcc
	v_add_f64 v[93:94], v[99:100], -v[103:104]
	v_add_f64 v[95:96], v[115:116], -v[109:110]
	v_mul_i32_i24_e32 v49, 0x50, v123
	v_mul_hi_i32_i24_e32 v48, 0x50, v123
	v_mov_b32_e32 v50, s11
	v_add_co_u32_e32 v89, vcc, s10, v49
	v_addc_co_u32_e32 v90, vcc, v50, v48, vcc
	ds_write_b128 v135, v[64:67]
	ds_write_b128 v135, v[68:71] offset:16
	ds_write_b128 v135, v[72:75] offset:32
	;; [unrolled: 1-line block ×5, first 2 shown]
	s_waitcnt lgkmcnt(0)
	s_barrier
	global_load_dwordx4 v[64:67], v[89:90], off
	global_load_dwordx4 v[60:63], v[89:90], off offset:16
	global_load_dwordx4 v[48:51], v[89:90], off offset:48
	;; [unrolled: 1-line block ×3, first 2 shown]
	v_mul_lo_u16_sdwa v56, v121, s17 dst_sel:DWORD dst_unused:UNUSED_PAD src0_sel:BYTE_0 src1_sel:DWORD
	v_lshrrev_b16_e32 v126, 10, v56
	v_mul_lo_u16_e32 v56, 6, v126
	v_sub_u16_e32 v172, v121, v56
	v_mov_b32_e32 v57, s11
	v_and_b32_e32 v58, 0xff, v172
	v_mov_b32_e32 v56, s10
	v_mad_u64_u32 v[91:92], s[16:17], v58, s16, v[56:57]
	global_load_dwordx4 v[76:79], v[89:90], off offset:64
	global_load_dwordx4 v[84:87], v[91:92], off
	global_load_dwordx4 v[80:83], v[91:92], off offset:16
	global_load_dwordx4 v[72:75], v[91:92], off offset:32
	global_load_dwordx4 v[68:71], v[91:92], off offset:48
	global_load_dwordx4 v[56:59], v[91:92], off offset:64
	ds_read_b128 v[89:92], v133
	ds_read_b128 v[93:96], v132 offset:192
	ds_read_b128 v[97:100], v132 offset:384
	;; [unrolled: 1-line block ×11, first 2 shown]
	v_cmp_lt_u16_e32 vcc, 5, v128
	s_waitcnt vmcnt(0) lgkmcnt(0)
	s_barrier
	v_mul_f64 v[121:122], v[99:100], v[66:67]
	v_mul_f64 v[152:153], v[97:98], v[66:67]
	;; [unrolled: 1-line block ×5, first 2 shown]
	v_fma_f64 v[97:98], v[97:98], v[64:65], -v[121:122]
	v_fma_f64 v[99:100], v[99:100], v[64:65], v[152:153]
	v_mul_f64 v[121:122], v[113:114], v[54:55]
	v_mul_f64 v[152:153], v[138:139], v[50:51]
	v_fma_f64 v[105:106], v[105:106], v[60:61], -v[154:155]
	v_mul_f64 v[154:155], v[136:137], v[50:51]
	v_fma_f64 v[107:108], v[107:108], v[60:61], v[156:157]
	v_fma_f64 v[113:114], v[113:114], v[52:53], -v[158:159]
	v_mul_f64 v[156:157], v[146:147], v[78:79]
	v_mul_f64 v[158:159], v[144:145], v[78:79]
	v_fma_f64 v[115:116], v[115:116], v[52:53], v[121:122]
	v_fma_f64 v[121:122], v[136:137], v[48:49], -v[152:153]
	v_mul_f64 v[136:137], v[103:104], v[86:87]
	v_mul_f64 v[152:153], v[101:102], v[86:87]
	v_fma_f64 v[138:139], v[138:139], v[48:49], v[154:155]
	v_mul_f64 v[154:155], v[111:112], v[82:83]
	v_fma_f64 v[144:145], v[144:145], v[76:77], -v[156:157]
	v_fma_f64 v[146:147], v[146:147], v[76:77], v[158:159]
	v_mul_f64 v[156:157], v[109:110], v[82:83]
	v_mul_f64 v[158:159], v[119:120], v[74:75]
	v_fma_f64 v[136:137], v[101:102], v[84:85], -v[136:137]
	v_mul_f64 v[101:102], v[117:118], v[74:75]
	v_fma_f64 v[152:153], v[103:104], v[84:85], v[152:153]
	v_mul_f64 v[103:104], v[142:143], v[70:71]
	v_fma_f64 v[154:155], v[109:110], v[80:81], -v[154:155]
	v_mul_f64 v[109:110], v[140:141], v[70:71]
	v_fma_f64 v[111:112], v[111:112], v[80:81], v[156:157]
	v_fma_f64 v[117:118], v[117:118], v[72:73], -v[158:159]
	v_add_f64 v[156:157], v[105:106], v[121:122]
	v_fma_f64 v[119:120], v[119:120], v[72:73], v[101:102]
	v_add_f64 v[101:102], v[113:114], v[144:145]
	v_add_f64 v[158:159], v[115:116], v[146:147]
	v_fma_f64 v[140:141], v[140:141], v[68:69], -v[103:104]
	v_mul_f64 v[103:104], v[150:151], v[58:59]
	v_fma_f64 v[142:143], v[142:143], v[68:69], v[109:110]
	v_add_f64 v[109:110], v[89:90], v[105:106]
	v_fma_f64 v[89:90], v[156:157], -0.5, v[89:90]
	v_add_f64 v[156:157], v[107:108], -v[138:139]
	v_fma_f64 v[101:102], v[101:102], -0.5, v[97:98]
	v_fma_f64 v[158:159], v[158:159], -0.5, v[99:100]
	v_add_f64 v[160:161], v[113:114], -v[144:145]
	v_add_f64 v[162:163], v[115:116], -v[146:147]
	v_fma_f64 v[164:165], v[148:149], v[56:57], -v[103:104]
	v_mul_f64 v[103:104], v[148:149], v[58:59]
	v_add_f64 v[148:149], v[107:108], v[138:139]
	v_fma_f64 v[166:167], v[156:157], s[6:7], v[89:90]
	v_fma_f64 v[156:157], v[156:157], s[12:13], v[89:90]
	v_add_f64 v[107:108], v[91:92], v[107:108]
	v_fma_f64 v[89:90], v[160:161], s[12:13], v[158:159]
	v_fma_f64 v[168:169], v[162:163], s[12:13], v[101:102]
	v_add_f64 v[109:110], v[109:110], v[121:122]
	v_fma_f64 v[101:102], v[162:163], s[6:7], v[101:102]
	v_fma_f64 v[91:92], v[148:149], -0.5, v[91:92]
	v_fma_f64 v[148:149], v[160:161], s[6:7], v[158:159]
	v_add_f64 v[105:106], v[105:106], -v[121:122]
	v_add_f64 v[97:98], v[97:98], v[113:114]
	v_mul_f64 v[113:114], v[89:90], s[6:7]
	v_mul_f64 v[121:122], v[168:169], -0.5
	v_add_f64 v[107:108], v[107:108], v[138:139]
	v_fma_f64 v[150:151], v[150:151], v[56:57], v[103:104]
	v_add_f64 v[99:100], v[99:100], v[115:116]
	v_mul_f64 v[138:139], v[148:149], -0.5
	v_mul_f64 v[115:116], v[101:102], s[12:13]
	v_add_f64 v[144:145], v[97:98], v[144:145]
	v_fma_f64 v[113:114], v[101:102], 0.5, v[113:114]
	v_fma_f64 v[121:122], v[148:149], s[6:7], v[121:122]
	v_add_f64 v[162:163], v[117:118], v[164:165]
	v_add_f64 v[160:161], v[154:155], v[140:141]
	v_fma_f64 v[158:159], v[105:106], s[12:13], v[91:92]
	v_fma_f64 v[138:139], v[168:169], s[12:13], v[138:139]
	v_add_f64 v[168:169], v[119:120], v[150:151]
	v_fma_f64 v[115:116], v[89:90], 0.5, v[115:116]
	v_fma_f64 v[148:149], v[105:106], s[6:7], v[91:92]
	v_add_f64 v[89:90], v[109:110], v[144:145]
	v_add_f64 v[97:98], v[166:167], v[113:114]
	;; [unrolled: 1-line block ×3, first 2 shown]
	v_add_f64 v[105:106], v[109:110], -v[144:145]
	v_add_f64 v[109:110], v[166:167], -v[113:114]
	;; [unrolled: 1-line block ×3, first 2 shown]
	v_fma_f64 v[156:157], v[162:163], -0.5, v[136:137]
	v_add_f64 v[166:167], v[119:120], -v[150:151]
	v_add_f64 v[146:147], v[99:100], v[146:147]
	v_add_f64 v[121:122], v[93:94], v[154:155]
	v_fma_f64 v[93:94], v[160:161], -0.5, v[93:94]
	v_add_f64 v[144:145], v[111:112], -v[142:143]
	v_fma_f64 v[160:161], v[168:169], -0.5, v[152:153]
	v_add_f64 v[162:163], v[117:118], -v[164:165]
	v_add_f64 v[168:169], v[111:112], v[142:143]
	v_add_f64 v[111:112], v[95:96], v[111:112]
	v_fma_f64 v[170:171], v[166:167], s[12:13], v[156:157]
	v_add_f64 v[91:92], v[107:108], v[146:147]
	v_add_f64 v[107:108], v[107:108], -v[146:147]
	v_fma_f64 v[146:147], v[144:145], s[6:7], v[93:94]
	v_fma_f64 v[144:145], v[144:145], s[12:13], v[93:94]
	v_fma_f64 v[93:94], v[162:163], s[12:13], v[160:161]
	v_fma_f64 v[156:157], v[166:167], s[6:7], v[156:157]
	v_fma_f64 v[160:161], v[162:163], s[6:7], v[160:161]
	v_add_f64 v[121:122], v[121:122], v[140:141]
	v_add_f64 v[140:141], v[154:155], -v[140:141]
	v_add_f64 v[154:155], v[111:112], v[142:143]
	v_add_f64 v[111:112], v[136:137], v[117:118]
	v_mul_f64 v[136:137], v[170:171], -0.5
	v_add_f64 v[119:120], v[152:153], v[119:120]
	v_fma_f64 v[95:96], v[168:169], -0.5, v[95:96]
	v_mul_f64 v[117:118], v[93:94], s[6:7]
	v_mul_f64 v[142:143], v[156:157], s[12:13]
	v_mul_f64 v[152:153], v[160:161], -0.5
	v_add_f64 v[99:100], v[158:159], v[115:116]
	v_add_f64 v[164:165], v[111:112], v[164:165]
	v_fma_f64 v[136:137], v[160:161], s[6:7], v[136:137]
	v_add_f64 v[160:161], v[119:120], v[150:151]
	v_fma_f64 v[162:163], v[140:141], s[12:13], v[95:96]
	v_fma_f64 v[156:157], v[156:157], 0.5, v[117:118]
	v_fma_f64 v[168:169], v[93:94], 0.5, v[142:143]
	v_fma_f64 v[166:167], v[140:141], s[6:7], v[95:96]
	v_fma_f64 v[152:153], v[170:171], s[12:13], v[152:153]
	v_add_f64 v[103:104], v[148:149], v[138:139]
	v_add_f64 v[111:112], v[158:159], -v[115:116]
	v_add_f64 v[93:94], v[121:122], v[164:165]
	v_add_f64 v[95:96], v[154:155], v[160:161]
	v_add_f64 v[115:116], v[148:149], -v[138:139]
	v_add_f64 v[117:118], v[146:147], v[156:157]
	v_add_f64 v[119:120], v[162:163], v[168:169]
	v_add_f64 v[142:143], v[121:122], -v[164:165]
	v_cndmask_b32_e64 v121, 0, 36, vcc
	v_add_f64 v[138:139], v[144:145], v[136:137]
	v_add_f64 v[140:141], v[166:167], v[152:153]
	v_add_u32_e32 v121, v123, v121
	v_add_f64 v[150:151], v[144:145], -v[136:137]
	v_add_f64 v[144:145], v[154:155], -v[160:161]
	v_add_lshl_u32 v136, v88, v121, 4
	v_add_f64 v[146:147], v[146:147], -v[156:157]
	v_add_f64 v[148:149], v[162:163], -v[168:169]
	ds_write_b128 v136, v[89:92]
	ds_write_b128 v136, v[97:100] offset:96
	ds_write_b128 v136, v[101:104] offset:192
	;; [unrolled: 1-line block ×5, first 2 shown]
	v_mad_u64_u32 v[108:109], s[10:11], v128, 48, s[10:11]
	v_add_f64 v[152:153], v[166:167], -v[152:153]
	v_mad_legacy_u16 v89, v126, 36, v172
	v_and_b32_e32 v89, 0xff, v89
	v_add_lshl_u32 v137, v88, v89, 4
	ds_write_b128 v137, v[93:96]
	ds_write_b128 v137, v[117:120] offset:96
	ds_write_b128 v137, v[138:141] offset:192
	;; [unrolled: 1-line block ×5, first 2 shown]
	s_waitcnt lgkmcnt(0)
	s_barrier
	global_load_dwordx4 v[96:99], v[108:109], off offset:480
	global_load_dwordx4 v[92:95], v[108:109], off offset:496
	;; [unrolled: 1-line block ×8, first 2 shown]
	s_nop 0
	global_load_dwordx4 v[108:111], v[108:109], off offset:1664
	ds_read_b128 v[138:141], v133
	ds_read_b128 v[142:145], v132 offset:192
	ds_read_b128 v[146:149], v132 offset:1152
	;; [unrolled: 1-line block ×11, first 2 shown]
	s_waitcnt vmcnt(8) lgkmcnt(7)
	v_mul_f64 v[186:187], v[156:157], v[98:99]
	v_mul_f64 v[188:189], v[154:155], v[98:99]
	s_waitcnt vmcnt(7)
	v_mul_f64 v[190:191], v[148:149], v[94:95]
	v_mul_f64 v[192:193], v[146:147], v[94:95]
	s_waitcnt vmcnt(6) lgkmcnt(3)
	v_mul_f64 v[194:195], v[172:173], v[90:91]
	v_mul_f64 v[196:197], v[170:171], v[90:91]
	s_waitcnt vmcnt(5)
	v_mul_f64 v[198:199], v[164:165], v[122:123]
	v_mul_f64 v[200:201], v[162:163], v[122:123]
	v_fma_f64 v[154:155], v[154:155], v[96:97], -v[186:187]
	v_fma_f64 v[156:157], v[156:157], v[96:97], v[188:189]
	v_fma_f64 v[146:147], v[146:147], v[92:93], -v[190:191]
	v_fma_f64 v[148:149], v[148:149], v[92:93], v[192:193]
	;; [unrolled: 2-line block ×3, first 2 shown]
	s_waitcnt vmcnt(4)
	v_mul_f64 v[186:187], v[152:153], v[106:107]
	v_mul_f64 v[188:189], v[150:151], v[106:107]
	s_waitcnt vmcnt(3) lgkmcnt(1)
	v_mul_f64 v[190:191], v[180:181], v[102:103]
	v_mul_f64 v[192:193], v[178:179], v[102:103]
	v_add_f64 v[194:195], v[138:139], -v[146:147]
	v_add_f64 v[196:197], v[140:141], -v[148:149]
	;; [unrolled: 1-line block ×4, first 2 shown]
	v_fma_f64 v[186:187], v[150:151], v[104:105], -v[186:187]
	v_fma_f64 v[188:189], v[152:153], v[104:105], v[188:189]
	v_fma_f64 v[178:179], v[178:179], v[100:101], -v[190:191]
	v_fma_f64 v[180:181], v[180:181], v[100:101], v[192:193]
	v_fma_f64 v[146:147], v[138:139], 2.0, -v[194:195]
	v_fma_f64 v[148:149], v[140:141], 2.0, -v[196:197]
	;; [unrolled: 1-line block ×4, first 2 shown]
	s_waitcnt vmcnt(2)
	v_mul_f64 v[150:151], v[168:169], v[118:119]
	v_mul_f64 v[152:153], v[166:167], v[118:119]
	s_waitcnt vmcnt(1)
	v_mul_f64 v[154:155], v[176:177], v[114:115]
	v_mul_f64 v[156:157], v[174:175], v[114:115]
	s_waitcnt vmcnt(0) lgkmcnt(0)
	v_mul_f64 v[190:191], v[184:185], v[110:111]
	v_mul_f64 v[192:193], v[182:183], v[110:111]
	v_fma_f64 v[162:163], v[162:163], v[120:121], -v[198:199]
	v_fma_f64 v[164:165], v[164:165], v[120:121], v[200:201]
	v_fma_f64 v[166:167], v[166:167], v[116:117], -v[150:151]
	v_fma_f64 v[168:169], v[168:169], v[116:117], v[152:153]
	;; [unrolled: 2-line block ×4, first 2 shown]
	v_add_f64 v[150:151], v[194:195], -v[172:173]
	v_add_f64 v[152:153], v[196:197], v[170:171]
	v_add_f64 v[182:183], v[142:143], -v[186:187]
	v_add_f64 v[184:185], v[144:145], -v[188:189]
	;; [unrolled: 1-line block ×8, first 2 shown]
	v_fma_f64 v[178:179], v[142:143], 2.0, -v[182:183]
	v_fma_f64 v[180:181], v[144:145], 2.0, -v[184:185]
	v_fma_f64 v[154:155], v[162:163], 2.0, -v[170:171]
	v_fma_f64 v[156:157], v[164:165], 2.0, -v[172:173]
	v_fma_f64 v[190:191], v[158:159], 2.0, -v[186:187]
	v_fma_f64 v[192:193], v[160:161], 2.0, -v[188:189]
	v_fma_f64 v[162:163], v[166:167], 2.0, -v[174:175]
	v_fma_f64 v[164:165], v[168:169], 2.0, -v[176:177]
	v_add_f64 v[138:139], v[146:147], -v[138:139]
	v_add_f64 v[140:141], v[148:149], -v[140:141]
	;; [unrolled: 1-line block ×5, first 2 shown]
	v_add_f64 v[160:161], v[184:185], v[170:171]
	v_add_f64 v[162:163], v[190:191], -v[162:163]
	v_add_f64 v[164:165], v[192:193], -v[164:165]
	;; [unrolled: 1-line block ×3, first 2 shown]
	v_add_f64 v[168:169], v[188:189], v[174:175]
	v_fma_f64 v[146:147], v[146:147], 2.0, -v[138:139]
	v_fma_f64 v[148:149], v[148:149], 2.0, -v[140:141]
	;; [unrolled: 1-line block ×12, first 2 shown]
	ds_write_b128 v133, v[146:149]
	ds_write_b128 v132, v[142:145] offset:576
	ds_write_b128 v132, v[138:141] offset:1152
	;; [unrolled: 1-line block ×11, first 2 shown]
	s_waitcnt lgkmcnt(0)
	s_barrier
	global_load_dwordx4 v[138:141], v125, s[8:9] offset:2304
	global_load_dwordx4 v[142:145], v125, s[14:15] offset:384
	;; [unrolled: 1-line block ×12, first 2 shown]
	ds_read_b128 v[186:189], v133
	s_waitcnt vmcnt(11) lgkmcnt(0)
	v_mul_f64 v[125:126], v[188:189], v[140:141]
	v_mul_f64 v[140:141], v[186:187], v[140:141]
	v_fma_f64 v[186:187], v[186:187], v[138:139], -v[125:126]
	v_fma_f64 v[188:189], v[188:189], v[138:139], v[140:141]
	ds_write_b128 v133, v[186:189]
	ds_read_b128 v[138:141], v132 offset:384
	ds_read_b128 v[186:189], v132 offset:192
	;; [unrolled: 1-line block ×6, first 2 shown]
	s_waitcnt vmcnt(10) lgkmcnt(5)
	v_mul_f64 v[125:126], v[140:141], v[144:145]
	v_mul_f64 v[144:145], v[138:139], v[144:145]
	s_waitcnt vmcnt(9) lgkmcnt(3)
	v_mul_f64 v[206:207], v[192:193], v[148:149]
	v_mul_f64 v[148:149], v[190:191], v[148:149]
	;; [unrolled: 3-line block ×3, first 2 shown]
	v_fma_f64 v[138:139], v[138:139], v[142:143], -v[125:126]
	v_fma_f64 v[140:141], v[140:141], v[142:143], v[144:145]
	v_fma_f64 v[142:143], v[190:191], v[146:147], -v[206:207]
	v_fma_f64 v[144:145], v[192:193], v[146:147], v[148:149]
	v_fma_f64 v[146:147], v[194:195], v[150:151], -v[208:209]
	v_fma_f64 v[148:149], v[196:197], v[150:151], v[152:153]
	s_waitcnt vmcnt(5)
	v_mul_f64 v[192:193], v[188:189], v[164:165]
	v_mul_f64 v[164:165], v[186:187], v[164:165]
	s_waitcnt vmcnt(4) lgkmcnt(1)
	v_mul_f64 v[194:195], v[200:201], v[168:169]
	ds_write_b128 v132, v[138:141] offset:384
	ds_read_b128 v[138:141], v132 offset:1536
	ds_write_b128 v132, v[142:145] offset:768
	ds_write_b128 v132, v[146:149] offset:1152
	ds_read_b128 v[142:145], v132 offset:1920
	ds_read_b128 v[146:149], v132 offset:1344
	v_mul_f64 v[168:169], v[198:199], v[168:169]
	s_waitcnt lgkmcnt(4)
	v_mul_f64 v[125:126], v[140:141], v[156:157]
	v_mul_f64 v[156:157], v[138:139], v[156:157]
	s_waitcnt lgkmcnt(1)
	v_mul_f64 v[190:191], v[144:145], v[160:161]
	v_mul_f64 v[160:161], v[142:143], v[160:161]
	ds_read_b128 v[150:153], v132 offset:1728
	v_fma_f64 v[138:139], v[138:139], v[154:155], -v[125:126]
	v_fma_f64 v[140:141], v[140:141], v[154:155], v[156:157]
	v_fma_f64 v[154:155], v[186:187], v[162:163], -v[192:193]
	v_fma_f64 v[156:157], v[188:189], v[162:163], v[164:165]
	ds_read_b128 v[162:165], v132 offset:2112
	v_fma_f64 v[144:145], v[144:145], v[158:159], v[160:161]
	v_fma_f64 v[160:161], v[200:201], v[166:167], v[168:169]
	s_waitcnt vmcnt(3)
	v_mul_f64 v[125:126], v[204:205], v[172:173]
	v_mul_f64 v[168:169], v[202:203], v[172:173]
	s_waitcnt vmcnt(2) lgkmcnt(2)
	v_mul_f64 v[172:173], v[148:149], v[176:177]
	v_mul_f64 v[176:177], v[146:147], v[176:177]
	s_waitcnt vmcnt(1) lgkmcnt(1)
	;; [unrolled: 3-line block ×3, first 2 shown]
	v_mul_f64 v[188:189], v[164:165], v[184:185]
	v_mul_f64 v[184:185], v[162:163], v[184:185]
	v_fma_f64 v[142:143], v[142:143], v[158:159], -v[190:191]
	v_fma_f64 v[158:159], v[198:199], v[166:167], -v[194:195]
	;; [unrolled: 1-line block ×3, first 2 shown]
	v_fma_f64 v[168:169], v[204:205], v[170:171], v[168:169]
	v_fma_f64 v[146:147], v[146:147], v[174:175], -v[172:173]
	v_fma_f64 v[148:149], v[148:149], v[174:175], v[176:177]
	v_fma_f64 v[150:151], v[150:151], v[178:179], -v[186:187]
	;; [unrolled: 2-line block ×3, first 2 shown]
	v_fma_f64 v[164:165], v[164:165], v[182:183], v[184:185]
	ds_write_b128 v132, v[138:141] offset:1536
	ds_write_b128 v132, v[142:145] offset:1920
	ds_write_b128 v132, v[154:157] offset:192
	ds_write_b128 v132, v[158:161] offset:576
	ds_write_b128 v132, v[166:169] offset:960
	ds_write_b128 v132, v[146:149] offset:1344
	ds_write_b128 v132, v[150:153] offset:1728
	ds_write_b128 v132, v[162:165] offset:2112
	s_waitcnt lgkmcnt(0)
	s_barrier
	ds_read_b128 v[138:141], v132 offset:1536
	ds_read_b128 v[142:145], v132 offset:768
	;; [unrolled: 1-line block ×6, first 2 shown]
	s_waitcnt lgkmcnt(4)
	v_add_f64 v[125:126], v[142:143], v[138:139]
	ds_read_b128 v[162:165], v133
	ds_read_b128 v[166:169], v132 offset:1344
	ds_read_b128 v[170:173], v132 offset:2112
	;; [unrolled: 1-line block ×4, first 2 shown]
	s_waitcnt lgkmcnt(5)
	v_add_f64 v[186:187], v[160:161], v[148:149]
	s_waitcnt lgkmcnt(4)
	v_add_f64 v[188:189], v[162:163], v[142:143]
	v_add_f64 v[190:191], v[158:159], v[146:147]
	v_add_f64 v[192:193], v[158:159], -v[146:147]
	v_fma_f64 v[125:126], v[125:126], -0.5, v[162:163]
	v_add_f64 v[162:163], v[144:145], -v[140:141]
	v_add_f64 v[194:195], v[164:165], v[144:145]
	v_add_f64 v[144:145], v[144:145], v[140:141]
	s_waitcnt lgkmcnt(0)
	v_fma_f64 v[186:187], v[186:187], -0.5, v[180:181]
	v_add_f64 v[188:189], v[188:189], v[138:139]
	v_fma_f64 v[190:191], v[190:191], -0.5, v[178:179]
	v_add_f64 v[198:199], v[160:161], -v[148:149]
	v_add_f64 v[138:139], v[142:143], -v[138:139]
	v_fma_f64 v[196:197], v[162:163], s[12:13], v[125:126]
	v_fma_f64 v[200:201], v[162:163], s[6:7], v[125:126]
	v_add_f64 v[142:143], v[178:179], v[158:159]
	v_fma_f64 v[125:126], v[192:193], s[6:7], v[186:187]
	v_fma_f64 v[162:163], v[192:193], s[12:13], v[186:187]
	v_add_f64 v[186:187], v[194:195], v[140:141]
	v_fma_f64 v[140:141], v[144:145], -0.5, v[164:165]
	v_fma_f64 v[144:145], v[198:199], s[12:13], v[190:191]
	v_fma_f64 v[158:159], v[198:199], s[6:7], v[190:191]
	v_add_f64 v[160:161], v[180:181], v[160:161]
	v_add_f64 v[192:193], v[142:143], v[146:147]
	v_mul_f64 v[164:165], v[125:126], s[12:13]
	v_mul_f64 v[178:179], v[162:163], s[12:13]
	v_mul_f64 v[162:163], v[162:163], -0.5
	v_fma_f64 v[180:181], v[138:139], s[6:7], v[140:141]
	v_fma_f64 v[190:191], v[138:139], s[12:13], v[140:141]
	v_add_f64 v[202:203], v[150:151], v[154:155]
	v_add_f64 v[160:161], v[160:161], v[148:149]
	;; [unrolled: 1-line block ×3, first 2 shown]
	v_fma_f64 v[164:165], v[144:145], 0.5, v[164:165]
	v_fma_f64 v[178:179], v[158:159], -0.5, v[178:179]
	v_fma_f64 v[198:199], v[158:159], s[6:7], v[162:163]
	v_add_f64 v[158:159], v[188:189], -v[192:193]
	v_add_f64 v[188:189], v[168:169], v[172:173]
	ds_read_b128 v[182:185], v132 offset:576
	v_add_f64 v[140:141], v[186:187], v[160:161]
	v_add_f64 v[192:193], v[152:153], -v[156:157]
	v_add_f64 v[142:143], v[196:197], v[164:165]
	v_add_f64 v[162:163], v[196:197], -v[164:165]
	v_add_f64 v[164:165], v[174:175], v[150:151]
	v_fma_f64 v[174:175], v[202:203], -0.5, v[174:175]
	v_add_f64 v[196:197], v[166:167], v[170:171]
	v_add_f64 v[160:161], v[186:187], -v[160:161]
	s_waitcnt lgkmcnt(0)
	v_fma_f64 v[186:187], v[188:189], -0.5, v[184:185]
	v_add_f64 v[188:189], v[166:167], -v[170:171]
	v_add_f64 v[146:147], v[200:201], v[178:179]
	v_add_f64 v[178:179], v[200:201], -v[178:179]
	v_add_f64 v[200:201], v[164:165], v[154:155]
	v_add_f64 v[164:165], v[176:177], v[152:153]
	;; [unrolled: 1-line block ×3, first 2 shown]
	v_fma_f64 v[202:203], v[192:193], s[12:13], v[174:175]
	v_fma_f64 v[196:197], v[196:197], -0.5, v[182:183]
	v_add_f64 v[204:205], v[168:169], -v[172:173]
	v_fma_f64 v[192:193], v[192:193], s[6:7], v[174:175]
	v_fma_f64 v[174:175], v[188:189], s[6:7], v[186:187]
	;; [unrolled: 1-line block ×3, first 2 shown]
	v_mul_f64 v[125:126], v[125:126], 0.5
	v_add_f64 v[150:151], v[150:151], -v[154:155]
	v_add_f64 v[154:155], v[182:183], v[166:167]
	v_add_f64 v[168:169], v[184:185], v[168:169]
	;; [unrolled: 1-line block ×3, first 2 shown]
	v_fma_f64 v[152:153], v[152:153], -0.5, v[176:177]
	v_fma_f64 v[156:157], v[204:205], s[12:13], v[196:197]
	v_fma_f64 v[164:165], v[204:205], s[6:7], v[196:197]
	v_mul_f64 v[166:167], v[174:175], s[12:13]
	v_mul_f64 v[176:177], v[186:187], s[12:13]
	v_mul_f64 v[174:175], v[174:175], 0.5
	v_mul_f64 v[182:183], v[186:187], -0.5
	v_fma_f64 v[194:195], v[144:145], s[6:7], v[125:126]
	v_add_f64 v[170:171], v[154:155], v[170:171]
	v_add_f64 v[172:173], v[168:169], v[172:173]
	v_fma_f64 v[184:185], v[150:151], s[6:7], v[152:153]
	v_fma_f64 v[186:187], v[150:151], s[12:13], v[152:153]
	v_fma_f64 v[196:197], v[156:157], 0.5, v[166:167]
	v_fma_f64 v[176:177], v[164:165], -0.5, v[176:177]
	v_fma_f64 v[204:205], v[156:157], s[6:7], v[174:175]
	v_fma_f64 v[206:207], v[164:165], s[6:7], v[182:183]
	v_add_f64 v[144:145], v[180:181], v[194:195]
	v_add_f64 v[148:149], v[190:191], v[198:199]
	v_add_f64 v[164:165], v[180:181], -v[194:195]
	v_add_f64 v[180:181], v[190:191], -v[198:199]
	v_add_f64 v[150:151], v[200:201], v[170:171]
	v_add_f64 v[152:153], v[188:189], v[172:173]
	v_add_f64 v[154:155], v[202:203], v[196:197]
	v_add_f64 v[166:167], v[192:193], v[176:177]
	v_add_f64 v[156:157], v[184:185], v[204:205]
	v_add_f64 v[168:169], v[186:187], v[206:207]
	v_add_f64 v[170:171], v[200:201], -v[170:171]
	v_add_f64 v[174:175], v[202:203], -v[196:197]
	v_add_f64 v[182:183], v[192:193], -v[176:177]
	v_add_f64 v[172:173], v[188:189], -v[172:173]
	v_add_f64 v[176:177], v[184:185], -v[204:205]
	v_add_f64 v[184:185], v[186:187], -v[206:207]
	s_barrier
	ds_write_b128 v134, v[138:141]
	ds_write_b128 v134, v[142:145] offset:16
	ds_write_b128 v134, v[146:149] offset:32
	;; [unrolled: 1-line block ×5, first 2 shown]
	ds_write_b128 v135, v[150:153]
	ds_write_b128 v135, v[154:157] offset:16
	ds_write_b128 v135, v[166:169] offset:32
	;; [unrolled: 1-line block ×5, first 2 shown]
	s_waitcnt lgkmcnt(0)
	s_barrier
	ds_read_b128 v[138:141], v133
	ds_read_b128 v[142:145], v132 offset:192
	ds_read_b128 v[146:149], v132 offset:384
	;; [unrolled: 1-line block ×7, first 2 shown]
	s_waitcnt lgkmcnt(5)
	v_mul_f64 v[134:135], v[66:67], v[148:149]
	v_mul_f64 v[66:67], v[66:67], v[146:147]
	s_waitcnt lgkmcnt(3)
	v_mul_f64 v[186:187], v[62:63], v[156:157]
	v_mul_f64 v[62:63], v[62:63], v[154:155]
	;; [unrolled: 3-line block ×3, first 2 shown]
	ds_read_b128 v[170:173], v132 offset:1536
	ds_read_b128 v[174:177], v132 offset:1728
	;; [unrolled: 1-line block ×4, first 2 shown]
	v_fma_f64 v[134:135], v[64:65], v[146:147], v[134:135]
	v_fma_f64 v[64:65], v[64:65], v[148:149], -v[66:67]
	v_fma_f64 v[66:67], v[60:61], v[154:155], v[186:187]
	s_waitcnt lgkmcnt(3)
	v_mul_f64 v[146:147], v[50:51], v[172:173]
	v_mul_f64 v[50:51], v[50:51], v[170:171]
	v_fma_f64 v[60:61], v[60:61], v[156:157], -v[62:63]
	v_fma_f64 v[62:63], v[52:53], v[162:163], v[188:189]
	s_waitcnt lgkmcnt(1)
	v_mul_f64 v[148:149], v[78:79], v[180:181]
	v_mul_f64 v[78:79], v[78:79], v[178:179]
	v_fma_f64 v[52:53], v[52:53], v[164:165], -v[54:55]
	v_mul_f64 v[54:55], v[86:87], v[152:153]
	v_fma_f64 v[146:147], v[48:49], v[170:171], v[146:147]
	v_fma_f64 v[48:49], v[48:49], v[172:173], -v[50:51]
	v_mul_f64 v[50:51], v[86:87], v[150:151]
	v_mul_f64 v[86:87], v[82:83], v[160:161]
	v_fma_f64 v[148:149], v[76:77], v[178:179], v[148:149]
	v_fma_f64 v[76:77], v[76:77], v[180:181], -v[78:79]
	v_mul_f64 v[78:79], v[82:83], v[158:159]
	v_fma_f64 v[82:83], v[84:85], v[150:151], v[54:55]
	v_mul_f64 v[54:55], v[74:75], v[168:169]
	v_mul_f64 v[74:75], v[74:75], v[166:167]
	v_fma_f64 v[84:85], v[84:85], v[152:153], -v[50:51]
	v_fma_f64 v[86:87], v[80:81], v[158:159], v[86:87]
	v_mul_f64 v[50:51], v[70:71], v[176:177]
	v_mul_f64 v[70:71], v[70:71], v[174:175]
	v_fma_f64 v[78:79], v[80:81], v[160:161], -v[78:79]
	v_add_f64 v[80:81], v[66:67], v[146:147]
	v_fma_f64 v[150:151], v[72:73], v[166:167], v[54:55]
	v_fma_f64 v[72:73], v[72:73], v[168:169], -v[74:75]
	s_waitcnt lgkmcnt(0)
	v_mul_f64 v[54:55], v[58:59], v[184:185]
	v_add_f64 v[74:75], v[52:53], v[76:77]
	v_fma_f64 v[152:153], v[68:69], v[174:175], v[50:51]
	v_fma_f64 v[70:71], v[68:69], v[176:177], -v[70:71]
	v_add_f64 v[50:51], v[138:139], v[66:67]
	v_fma_f64 v[68:69], v[80:81], -0.5, v[138:139]
	v_add_f64 v[80:81], v[60:61], -v[48:49]
	v_add_f64 v[138:139], v[62:63], v[148:149]
	v_fma_f64 v[154:155], v[56:57], v[182:183], v[54:55]
	v_fma_f64 v[54:55], v[74:75], -0.5, v[64:65]
	v_add_f64 v[74:75], v[62:63], -v[148:149]
	v_add_f64 v[160:161], v[52:53], -v[76:77]
	v_add_f64 v[156:157], v[50:51], v[146:147]
	v_add_f64 v[50:51], v[60:61], v[48:49]
	v_fma_f64 v[158:159], v[80:81], s[12:13], v[68:69]
	v_fma_f64 v[138:139], v[138:139], -0.5, v[134:135]
	v_fma_f64 v[68:69], v[80:81], s[6:7], v[68:69]
	v_add_f64 v[60:61], v[140:141], v[60:61]
	v_fma_f64 v[80:81], v[74:75], s[6:7], v[54:55]
	v_fma_f64 v[54:55], v[74:75], s[12:13], v[54:55]
	v_mul_f64 v[58:59], v[58:59], v[182:183]
	v_fma_f64 v[50:51], v[50:51], -0.5, v[140:141]
	v_add_f64 v[66:67], v[66:67], -v[146:147]
	v_add_f64 v[62:63], v[134:135], v[62:63]
	v_fma_f64 v[74:75], v[160:161], s[12:13], v[138:139]
	v_fma_f64 v[134:135], v[160:161], s[6:7], v[138:139]
	v_mul_f64 v[138:139], v[80:81], s[12:13]
	v_mul_f64 v[140:141], v[54:55], s[12:13]
	v_add_f64 v[146:147], v[60:61], v[48:49]
	v_mul_f64 v[48:49], v[80:81], 0.5
	v_mul_f64 v[54:55], v[54:55], -0.5
	v_add_f64 v[52:53], v[64:65], v[52:53]
	v_fma_f64 v[80:81], v[66:67], s[6:7], v[50:51]
	v_add_f64 v[60:61], v[62:63], v[148:149]
	v_fma_f64 v[62:63], v[74:75], 0.5, v[138:139]
	v_fma_f64 v[138:139], v[134:135], -0.5, v[140:141]
	v_fma_f64 v[140:141], v[66:67], s[12:13], v[50:51]
	v_fma_f64 v[66:67], v[74:75], s[6:7], v[48:49]
	;; [unrolled: 1-line block ×3, first 2 shown]
	v_fma_f64 v[134:135], v[56:57], v[184:185], -v[58:59]
	v_add_f64 v[76:77], v[52:53], v[76:77]
	v_add_f64 v[48:49], v[156:157], v[60:61]
	;; [unrolled: 1-line block ×3, first 2 shown]
	v_add_f64 v[60:61], v[156:157], -v[60:61]
	v_add_f64 v[52:53], v[158:159], v[62:63]
	v_add_f64 v[56:57], v[68:69], v[138:139]
	v_add_f64 v[64:65], v[158:159], -v[62:63]
	v_add_f64 v[156:157], v[72:73], v[134:135]
	v_add_f64 v[50:51], v[146:147], v[76:77]
	;; [unrolled: 1-line block ×3, first 2 shown]
	v_add_f64 v[68:69], v[68:69], -v[138:139]
	v_fma_f64 v[138:139], v[148:149], -0.5, v[142:143]
	v_add_f64 v[142:143], v[78:79], -v[70:71]
	v_add_f64 v[148:149], v[150:151], v[154:155]
	v_add_f64 v[62:63], v[146:147], -v[76:77]
	v_fma_f64 v[76:77], v[156:157], -0.5, v[84:85]
	v_add_f64 v[146:147], v[150:151], -v[154:155]
	v_add_f64 v[156:157], v[158:159], v[152:153]
	v_add_f64 v[158:159], v[144:145], v[78:79]
	;; [unrolled: 1-line block ×3, first 2 shown]
	v_fma_f64 v[160:161], v[142:143], s[12:13], v[138:139]
	v_fma_f64 v[148:149], v[148:149], -0.5, v[82:83]
	v_add_f64 v[162:163], v[72:73], -v[134:135]
	v_fma_f64 v[142:143], v[142:143], s[6:7], v[138:139]
	v_fma_f64 v[138:139], v[146:147], s[6:7], v[76:77]
	;; [unrolled: 1-line block ×3, first 2 shown]
	v_add_f64 v[82:83], v[82:83], v[150:151]
	v_add_f64 v[72:73], v[84:85], v[72:73]
	;; [unrolled: 1-line block ×3, first 2 shown]
	v_fma_f64 v[70:71], v[78:79], -0.5, v[144:145]
	v_add_f64 v[78:79], v[86:87], -v[152:153]
	v_fma_f64 v[86:87], v[162:163], s[12:13], v[148:149]
	v_fma_f64 v[144:145], v[162:163], s[6:7], v[148:149]
	v_mul_f64 v[148:149], v[138:139], s[12:13]
	v_mul_f64 v[150:151], v[76:77], s[12:13]
	v_mul_f64 v[84:85], v[138:139], 0.5
	v_mul_f64 v[76:77], v[76:77], -0.5
	v_add_f64 v[138:139], v[82:83], v[154:155]
	v_add_f64 v[134:135], v[72:73], v[134:135]
	v_fma_f64 v[152:153], v[78:79], s[6:7], v[70:71]
	v_fma_f64 v[158:159], v[78:79], s[12:13], v[70:71]
	v_fma_f64 v[148:149], v[86:87], 0.5, v[148:149]
	v_fma_f64 v[150:151], v[144:145], -0.5, v[150:151]
	v_fma_f64 v[154:155], v[86:87], s[6:7], v[84:85]
	v_fma_f64 v[144:145], v[144:145], s[6:7], v[76:77]
	v_add_f64 v[54:55], v[80:81], v[66:67]
	v_add_f64 v[58:59], v[140:141], v[74:75]
	v_add_f64 v[66:67], v[80:81], -v[66:67]
	v_add_f64 v[70:71], v[140:141], -v[74:75]
	v_add_f64 v[72:73], v[156:157], v[138:139]
	v_add_f64 v[74:75], v[146:147], v[134:135]
	;; [unrolled: 1-line block ×6, first 2 shown]
	v_add_f64 v[84:85], v[156:157], -v[138:139]
	v_add_f64 v[138:139], v[160:161], -v[148:149]
	;; [unrolled: 1-line block ×6, first 2 shown]
	s_barrier
	ds_write_b128 v136, v[48:51]
	ds_write_b128 v136, v[52:55] offset:96
	ds_write_b128 v136, v[56:59] offset:192
	;; [unrolled: 1-line block ×5, first 2 shown]
	ds_write_b128 v137, v[72:75]
	ds_write_b128 v137, v[76:79] offset:96
	ds_write_b128 v137, v[80:83] offset:192
	;; [unrolled: 1-line block ×5, first 2 shown]
	s_waitcnt lgkmcnt(0)
	s_barrier
	ds_read_b128 v[48:51], v133
	ds_read_b128 v[52:55], v132 offset:192
	ds_read_b128 v[56:59], v132 offset:1152
	;; [unrolled: 1-line block ×11, first 2 shown]
	s_waitcnt lgkmcnt(7)
	v_mul_f64 v[142:143], v[98:99], v[66:67]
	v_mul_f64 v[98:99], v[98:99], v[64:65]
	;; [unrolled: 1-line block ×4, first 2 shown]
	s_waitcnt lgkmcnt(3)
	v_mul_f64 v[146:147], v[90:91], v[82:83]
	v_mul_f64 v[90:91], v[90:91], v[80:81]
	;; [unrolled: 1-line block ×4, first 2 shown]
	v_fma_f64 v[64:65], v[96:97], v[64:65], v[142:143]
	v_fma_f64 v[66:67], v[96:97], v[66:67], -v[98:99]
	v_fma_f64 v[56:57], v[92:93], v[56:57], v[144:145]
	v_fma_f64 v[58:59], v[92:93], v[58:59], -v[94:95]
	;; [unrolled: 2-line block ×3, first 2 shown]
	v_mul_f64 v[88:89], v[106:107], v[62:63]
	v_mul_f64 v[90:91], v[106:107], v[60:61]
	s_waitcnt lgkmcnt(1)
	v_mul_f64 v[92:93], v[102:103], v[136:137]
	v_mul_f64 v[94:95], v[102:103], v[134:135]
	v_add_f64 v[96:97], v[48:49], -v[56:57]
	v_add_f64 v[98:99], v[50:51], -v[58:59]
	;; [unrolled: 1-line block ×4, first 2 shown]
	v_fma_f64 v[88:89], v[104:105], v[60:61], v[88:89]
	v_fma_f64 v[90:91], v[104:105], v[62:63], -v[90:91]
	v_fma_f64 v[92:93], v[100:101], v[134:135], v[92:93]
	v_fma_f64 v[94:95], v[100:101], v[136:137], -v[94:95]
	v_fma_f64 v[56:57], v[48:49], 2.0, -v[96:97]
	v_fma_f64 v[58:59], v[50:51], 2.0, -v[98:99]
	;; [unrolled: 1-line block ×4, first 2 shown]
	v_mul_f64 v[60:61], v[118:119], v[78:79]
	v_mul_f64 v[62:63], v[118:119], v[76:77]
	v_mul_f64 v[64:65], v[114:115], v[86:87]
	v_mul_f64 v[66:67], v[114:115], v[84:85]
	s_waitcnt lgkmcnt(0)
	v_mul_f64 v[100:101], v[110:111], v[140:141]
	v_mul_f64 v[102:103], v[110:111], v[138:139]
	v_fma_f64 v[72:73], v[120:121], v[72:73], v[148:149]
	v_fma_f64 v[74:75], v[120:121], v[74:75], -v[122:123]
	v_fma_f64 v[76:77], v[116:117], v[76:77], v[60:61]
	v_fma_f64 v[78:79], v[116:117], v[78:79], -v[62:63]
	;; [unrolled: 2-line block ×4, first 2 shown]
	v_add_f64 v[60:61], v[96:97], v[82:83]
	v_add_f64 v[62:63], v[98:99], -v[80:81]
	v_add_f64 v[88:89], v[52:53], -v[88:89]
	v_add_f64 v[90:91], v[54:55], -v[90:91]
	v_add_f64 v[80:81], v[72:73], -v[92:93]
	v_add_f64 v[82:83], v[74:75], -v[94:95]
	v_add_f64 v[92:93], v[68:69], -v[64:65]
	v_add_f64 v[94:95], v[70:71], -v[66:67]
	v_add_f64 v[84:85], v[76:77], -v[84:85]
	v_add_f64 v[86:87], v[78:79], -v[86:87]
	v_fma_f64 v[100:101], v[52:53], 2.0, -v[88:89]
	v_fma_f64 v[102:103], v[54:55], 2.0, -v[90:91]
	v_fma_f64 v[64:65], v[72:73], 2.0, -v[80:81]
	v_fma_f64 v[66:67], v[74:75], 2.0, -v[82:83]
	v_add_f64 v[48:49], v[56:57], -v[48:49]
	v_add_f64 v[50:51], v[58:59], -v[50:51]
	v_fma_f64 v[104:105], v[68:69], 2.0, -v[92:93]
	v_fma_f64 v[106:107], v[70:71], 2.0, -v[94:95]
	;; [unrolled: 1-line block ×4, first 2 shown]
	v_add_f64 v[64:65], v[100:101], -v[64:65]
	v_add_f64 v[66:67], v[102:103], -v[66:67]
	v_add_f64 v[68:69], v[88:89], v[82:83]
	v_add_f64 v[70:71], v[90:91], -v[80:81]
	v_fma_f64 v[56:57], v[56:57], 2.0, -v[48:49]
	v_fma_f64 v[58:59], v[58:59], 2.0, -v[50:51]
	v_add_f64 v[72:73], v[104:105], -v[72:73]
	v_add_f64 v[74:75], v[106:107], -v[74:75]
	v_add_f64 v[76:77], v[92:93], v[86:87]
	v_add_f64 v[78:79], v[94:95], -v[84:85]
	v_fma_f64 v[52:53], v[96:97], 2.0, -v[60:61]
	v_fma_f64 v[54:55], v[98:99], 2.0, -v[62:63]
	;; [unrolled: 1-line block ×10, first 2 shown]
	ds_write_b128 v133, v[56:59]
	ds_write_b128 v132, v[52:55] offset:576
	ds_write_b128 v132, v[48:51] offset:1152
	ds_write_b128 v132, v[60:63] offset:1728
	ds_write_b128 v132, v[80:83] offset:192
	ds_write_b128 v132, v[84:87] offset:768
	ds_write_b128 v132, v[64:67] offset:1344
	ds_write_b128 v132, v[68:71] offset:1920
	ds_write_b128 v132, v[88:91] offset:384
	ds_write_b128 v132, v[92:95] offset:960
	ds_write_b128 v132, v[72:75] offset:1536
	ds_write_b128 v132, v[76:79] offset:2112
	s_waitcnt lgkmcnt(0)
	s_barrier
	ds_read_b128 v[48:51], v133
	v_mad_u64_u32 v[125:126], s[8:9], s2, v124, 0
	ds_read_b128 v[52:55], v132 offset:192
	v_mov_b32_e32 v66, s5
	s_waitcnt lgkmcnt(1)
	v_mul_f64 v[57:58], v[2:3], v[50:51]
	v_mul_f64 v[2:3], v[2:3], v[48:49]
	v_mov_b32_e32 v56, v126
	s_mul_hi_u32 s5, s0, 0x180
	v_mad_u64_u32 v[68:69], s[6:7], s0, v129, 0
	s_mul_i32 s8, s1, 0x300
	v_mad_u64_u32 v[59:60], s[2:3], s3, v124, v[56:57]
	v_mad_u64_u32 v[60:61], s[2:3], s0, v128, 0
	v_fma_f64 v[48:49], v[0:1], v[48:49], v[57:58]
	v_fma_f64 v[50:51], v[0:1], v[50:51], -v[2:3]
	v_mov_b32_e32 v0, v61
	v_mad_u64_u32 v[56:57], s[6:7], s1, v128, v[0:1]
	ds_read_b128 v[0:3], v132 offset:384
	v_mov_b32_e32 v126, v59
	v_lshlrev_b64 v[64:65], 4, v[125:126]
	v_mov_b32_e32 v61, v56
	v_add_co_u32_e32 v72, vcc, s4, v64
	s_waitcnt lgkmcnt(0)
	v_mul_f64 v[62:63], v[10:11], v[2:3]
	v_mul_f64 v[10:11], v[10:11], v[0:1]
	v_addc_co_u32_e32 v73, vcc, v66, v65, vcc
	ds_read_b128 v[56:59], v132 offset:576
	s_mov_b32 s2, 0x1c71c71c
	s_mov_b32 s3, 0x3f7c71c7
	v_mul_f64 v[48:49], v[48:49], s[2:3]
	v_fma_f64 v[0:1], v[8:9], v[0:1], v[62:63]
	v_fma_f64 v[2:3], v[8:9], v[2:3], -v[10:11]
	v_lshlrev_b64 v[8:9], 4, v[60:61]
	v_mul_f64 v[50:51], v[50:51], s[2:3]
	v_add_co_u32_e32 v60, vcc, v72, v8
	v_addc_co_u32_e32 v61, vcc, v73, v9, vcc
	ds_read_b128 v[8:11], v132 offset:768
	s_mul_i32 s4, s1, 0x180
	s_add_i32 s4, s5, s4
	s_mul_i32 s5, s0, 0x180
	v_mov_b32_e32 v62, s4
	s_waitcnt lgkmcnt(0)
	v_mul_f64 v[64:65], v[6:7], v[10:11]
	v_mul_f64 v[6:7], v[6:7], v[8:9]
	v_add_co_u32_e32 v66, vcc, s5, v60
	global_store_dwordx4 v[60:61], v[48:51], off
	v_mul_f64 v[0:1], v[0:1], s[2:3]
	v_mul_f64 v[2:3], v[2:3], s[2:3]
	ds_read_b128 v[48:51], v132 offset:960
	v_addc_co_u32_e32 v67, vcc, v61, v62, vcc
	ds_read_b128 v[60:63], v132 offset:1152
	v_fma_f64 v[8:9], v[4:5], v[8:9], v[64:65]
	v_fma_f64 v[10:11], v[4:5], v[10:11], -v[6:7]
	v_mov_b32_e32 v64, v69
	v_mad_u64_u32 v[64:65], s[6:7], s1, v129, v[64:65]
	s_waitcnt lgkmcnt(0)
	v_mul_f64 v[70:71], v[14:15], v[62:63]
	global_store_dwordx4 v[66:67], v[0:3], off
	v_mov_b32_e32 v69, v64
	v_mul_f64 v[0:1], v[8:9], s[2:3]
	v_mul_f64 v[2:3], v[10:11], s[2:3]
	v_lshlrev_b64 v[10:11], 4, v[68:69]
	v_mul_f64 v[8:9], v[14:15], v[60:61]
	v_add_co_u32_e32 v10, vcc, v72, v10
	v_fma_f64 v[14:15], v[12:13], v[60:61], v[70:71]
	v_addc_co_u32_e32 v11, vcc, v73, v11, vcc
	ds_read_b128 v[4:7], v132 offset:1344
	global_store_dwordx4 v[10:11], v[0:3], off
	ds_read_b128 v[0:3], v132 offset:1536
	v_fma_f64 v[10:11], v[12:13], v[62:63], -v[8:9]
	v_mad_u64_u32 v[64:65], s[6:7], s0, v127, v[66:67]
	v_mul_f64 v[8:9], v[14:15], s[2:3]
	ds_read_b128 v[12:15], v132 offset:1728
	ds_read_b128 v[60:63], v132 offset:1920
	s_waitcnt lgkmcnt(2)
	v_mul_f64 v[66:67], v[18:19], v[2:3]
	v_mul_f64 v[18:19], v[18:19], v[0:1]
	v_mad_u64_u32 v[68:69], s[6:7], s0, v130, 0
	s_waitcnt lgkmcnt(0)
	v_mul_f64 v[70:71], v[22:23], v[62:63]
	v_mul_f64 v[22:23], v[22:23], v[60:61]
	;; [unrolled: 1-line block ×3, first 2 shown]
	v_add_u32_e32 v65, s8, v65
	v_fma_f64 v[66:67], v[16:17], v[0:1], v[66:67]
	v_fma_f64 v[16:17], v[16:17], v[2:3], -v[18:19]
	v_mov_b32_e32 v18, v69
	v_mad_u64_u32 v[18:19], s[6:7], s1, v130, v[18:19]
	s_mulk_i32 s1, 0xf940
	global_store_dwordx4 v[64:65], v[8:11], off
	v_mov_b32_e32 v69, v18
	v_fma_f64 v[18:19], v[20:21], v[60:61], v[70:71]
	v_fma_f64 v[20:21], v[20:21], v[62:63], -v[22:23]
	v_mul_f64 v[22:23], v[26:27], v[54:55]
	v_mul_f64 v[26:27], v[26:27], v[52:53]
	;; [unrolled: 1-line block ×3, first 2 shown]
	v_lshlrev_b64 v[16:17], 4, v[68:69]
	v_mul_f64 v[8:9], v[66:67], s[2:3]
	v_add_co_u32_e32 v60, vcc, v72, v16
	v_addc_co_u32_e32 v61, vcc, v73, v17, vcc
	v_mul_f64 v[16:17], v[18:19], s[2:3]
	v_mul_f64 v[18:19], v[20:21], s[2:3]
	v_fma_f64 v[20:21], v[24:25], v[52:53], v[22:23]
	v_fma_f64 v[22:23], v[24:25], v[54:55], -v[26:27]
	v_mul_f64 v[26:27], v[30:31], v[58:59]
	v_mul_f64 v[30:31], v[30:31], v[56:57]
	v_mad_u64_u32 v[24:25], s[6:7], s0, v127, v[64:65]
	global_store_dwordx4 v[60:61], v[8:11], off
	ds_read_b128 v[0:3], v132 offset:2112
	v_add_u32_e32 v25, s8, v25
	global_store_dwordx4 v[24:25], v[16:19], off
	v_mul_f64 v[8:9], v[20:21], s[2:3]
	v_mul_f64 v[10:11], v[22:23], s[2:3]
	v_fma_f64 v[18:19], v[28:29], v[56:57], v[26:27]
	v_fma_f64 v[20:21], v[28:29], v[58:59], -v[30:31]
	v_mul_f64 v[22:23], v[34:35], v[50:51]
	v_mad_u64_u32 v[16:17], s[6:7], s0, v131, v[24:25]
	v_mul_f64 v[24:25], v[34:35], v[48:49]
	s_sub_i32 s0, s1, s0
	v_add_u32_e32 v17, s0, v17
	global_store_dwordx4 v[16:17], v[8:11], off
	v_mov_b32_e32 v26, s4
	v_mul_f64 v[8:9], v[18:19], s[2:3]
	v_mul_f64 v[10:11], v[20:21], s[2:3]
	v_fma_f64 v[18:19], v[32:33], v[48:49], v[22:23]
	v_fma_f64 v[20:21], v[32:33], v[50:51], -v[24:25]
	v_mul_f64 v[22:23], v[38:39], v[6:7]
	v_mul_f64 v[24:25], v[38:39], v[4:5]
	v_add_co_u32_e32 v16, vcc, s5, v16
	v_addc_co_u32_e32 v17, vcc, v17, v26, vcc
	global_store_dwordx4 v[16:17], v[8:11], off
	v_add_co_u32_e32 v16, vcc, s5, v16
	v_mul_f64 v[8:9], v[18:19], s[2:3]
	v_mov_b32_e32 v18, s4
	v_mul_f64 v[10:11], v[20:21], s[2:3]
	v_addc_co_u32_e32 v17, vcc, v17, v18, vcc
	v_mul_f64 v[18:19], v[42:43], v[14:15]
	v_mul_f64 v[20:21], v[42:43], v[12:13]
	v_fma_f64 v[4:5], v[36:37], v[4:5], v[22:23]
	v_fma_f64 v[6:7], v[36:37], v[6:7], -v[24:25]
	s_waitcnt lgkmcnt(0)
	v_mul_f64 v[22:23], v[46:47], v[2:3]
	v_mul_f64 v[24:25], v[46:47], v[0:1]
	global_store_dwordx4 v[16:17], v[8:11], off
	v_add_co_u32_e32 v16, vcc, s5, v16
	v_fma_f64 v[8:9], v[40:41], v[12:13], v[18:19]
	v_fma_f64 v[10:11], v[40:41], v[14:15], -v[20:21]
	v_mul_f64 v[4:5], v[4:5], s[2:3]
	v_mul_f64 v[6:7], v[6:7], s[2:3]
	v_fma_f64 v[12:13], v[44:45], v[0:1], v[22:23]
	v_fma_f64 v[14:15], v[44:45], v[2:3], -v[24:25]
	v_addc_co_u32_e32 v17, vcc, v17, v26, vcc
	v_mul_f64 v[0:1], v[8:9], s[2:3]
	v_mul_f64 v[2:3], v[10:11], s[2:3]
	v_mov_b32_e32 v9, s4
	global_store_dwordx4 v[16:17], v[4:7], off
	v_add_co_u32_e32 v8, vcc, s5, v16
	v_mul_f64 v[4:5], v[12:13], s[2:3]
	v_mul_f64 v[6:7], v[14:15], s[2:3]
	v_addc_co_u32_e32 v9, vcc, v17, v9, vcc
	global_store_dwordx4 v[8:9], v[0:3], off
	s_nop 0
	v_mov_b32_e32 v1, s4
	v_add_co_u32_e32 v0, vcc, s5, v8
	v_addc_co_u32_e32 v1, vcc, v9, v1, vcc
	global_store_dwordx4 v[0:1], v[4:7], off
.LBB0_2:
	s_endpgm
	.section	.rodata,"a",@progbits
	.p2align	6, 0x0
	.amdhsa_kernel bluestein_single_back_len144_dim1_dp_op_CI_CI
		.amdhsa_group_segment_fixed_size 23040
		.amdhsa_private_segment_fixed_size 0
		.amdhsa_kernarg_size 104
		.amdhsa_user_sgpr_count 6
		.amdhsa_user_sgpr_private_segment_buffer 1
		.amdhsa_user_sgpr_dispatch_ptr 0
		.amdhsa_user_sgpr_queue_ptr 0
		.amdhsa_user_sgpr_kernarg_segment_ptr 1
		.amdhsa_user_sgpr_dispatch_id 0
		.amdhsa_user_sgpr_flat_scratch_init 0
		.amdhsa_user_sgpr_private_segment_size 0
		.amdhsa_uses_dynamic_stack 0
		.amdhsa_system_sgpr_private_segment_wavefront_offset 0
		.amdhsa_system_sgpr_workgroup_id_x 1
		.amdhsa_system_sgpr_workgroup_id_y 0
		.amdhsa_system_sgpr_workgroup_id_z 0
		.amdhsa_system_sgpr_workgroup_info 0
		.amdhsa_system_vgpr_workitem_id 0
		.amdhsa_next_free_vgpr 210
		.amdhsa_next_free_sgpr 20
		.amdhsa_reserve_vcc 1
		.amdhsa_reserve_flat_scratch 0
		.amdhsa_float_round_mode_32 0
		.amdhsa_float_round_mode_16_64 0
		.amdhsa_float_denorm_mode_32 3
		.amdhsa_float_denorm_mode_16_64 3
		.amdhsa_dx10_clamp 1
		.amdhsa_ieee_mode 1
		.amdhsa_fp16_overflow 0
		.amdhsa_exception_fp_ieee_invalid_op 0
		.amdhsa_exception_fp_denorm_src 0
		.amdhsa_exception_fp_ieee_div_zero 0
		.amdhsa_exception_fp_ieee_overflow 0
		.amdhsa_exception_fp_ieee_underflow 0
		.amdhsa_exception_fp_ieee_inexact 0
		.amdhsa_exception_int_div_zero 0
	.end_amdhsa_kernel
	.text
.Lfunc_end0:
	.size	bluestein_single_back_len144_dim1_dp_op_CI_CI, .Lfunc_end0-bluestein_single_back_len144_dim1_dp_op_CI_CI
                                        ; -- End function
	.section	.AMDGPU.csdata,"",@progbits
; Kernel info:
; codeLenInByte = 9848
; NumSgprs: 24
; NumVgprs: 210
; ScratchSize: 0
; MemoryBound: 0
; FloatMode: 240
; IeeeMode: 1
; LDSByteSize: 23040 bytes/workgroup (compile time only)
; SGPRBlocks: 2
; VGPRBlocks: 52
; NumSGPRsForWavesPerEU: 24
; NumVGPRsForWavesPerEU: 210
; Occupancy: 1
; WaveLimiterHint : 1
; COMPUTE_PGM_RSRC2:SCRATCH_EN: 0
; COMPUTE_PGM_RSRC2:USER_SGPR: 6
; COMPUTE_PGM_RSRC2:TRAP_HANDLER: 0
; COMPUTE_PGM_RSRC2:TGID_X_EN: 1
; COMPUTE_PGM_RSRC2:TGID_Y_EN: 0
; COMPUTE_PGM_RSRC2:TGID_Z_EN: 0
; COMPUTE_PGM_RSRC2:TIDIG_COMP_CNT: 0
	.type	__hip_cuid_b86b7c9ac5d3972e,@object ; @__hip_cuid_b86b7c9ac5d3972e
	.section	.bss,"aw",@nobits
	.globl	__hip_cuid_b86b7c9ac5d3972e
__hip_cuid_b86b7c9ac5d3972e:
	.byte	0                               ; 0x0
	.size	__hip_cuid_b86b7c9ac5d3972e, 1

	.ident	"AMD clang version 19.0.0git (https://github.com/RadeonOpenCompute/llvm-project roc-6.4.0 25133 c7fe45cf4b819c5991fe208aaa96edf142730f1d)"
	.section	".note.GNU-stack","",@progbits
	.addrsig
	.addrsig_sym __hip_cuid_b86b7c9ac5d3972e
	.amdgpu_metadata
---
amdhsa.kernels:
  - .args:
      - .actual_access:  read_only
        .address_space:  global
        .offset:         0
        .size:           8
        .value_kind:     global_buffer
      - .actual_access:  read_only
        .address_space:  global
        .offset:         8
        .size:           8
        .value_kind:     global_buffer
      - .actual_access:  read_only
        .address_space:  global
        .offset:         16
        .size:           8
        .value_kind:     global_buffer
      - .actual_access:  read_only
        .address_space:  global
        .offset:         24
        .size:           8
        .value_kind:     global_buffer
      - .actual_access:  read_only
        .address_space:  global
        .offset:         32
        .size:           8
        .value_kind:     global_buffer
      - .offset:         40
        .size:           8
        .value_kind:     by_value
      - .address_space:  global
        .offset:         48
        .size:           8
        .value_kind:     global_buffer
      - .address_space:  global
        .offset:         56
        .size:           8
        .value_kind:     global_buffer
      - .address_space:  global
        .offset:         64
        .size:           8
        .value_kind:     global_buffer
      - .address_space:  global
        .offset:         72
        .size:           8
        .value_kind:     global_buffer
      - .offset:         80
        .size:           4
        .value_kind:     by_value
      - .address_space:  global
        .offset:         88
        .size:           8
        .value_kind:     global_buffer
      - .address_space:  global
        .offset:         96
        .size:           8
        .value_kind:     global_buffer
    .group_segment_fixed_size: 23040
    .kernarg_segment_align: 8
    .kernarg_segment_size: 104
    .language:       OpenCL C
    .language_version:
      - 2
      - 0
    .max_flat_workgroup_size: 120
    .name:           bluestein_single_back_len144_dim1_dp_op_CI_CI
    .private_segment_fixed_size: 0
    .sgpr_count:     24
    .sgpr_spill_count: 0
    .symbol:         bluestein_single_back_len144_dim1_dp_op_CI_CI.kd
    .uniform_work_group_size: 1
    .uses_dynamic_stack: false
    .vgpr_count:     210
    .vgpr_spill_count: 0
    .wavefront_size: 64
amdhsa.target:   amdgcn-amd-amdhsa--gfx906
amdhsa.version:
  - 1
  - 2
...

	.end_amdgpu_metadata
